;; amdgpu-corpus repo=ROCm/rocFFT kind=compiled arch=gfx906 opt=O3
	.text
	.amdgcn_target "amdgcn-amd-amdhsa--gfx906"
	.amdhsa_code_object_version 6
	.protected	fft_rtc_back_len910_factors_13_2_7_5_wgs_182_tpt_91_half_ip_CI_sbrr_dirReg ; -- Begin function fft_rtc_back_len910_factors_13_2_7_5_wgs_182_tpt_91_half_ip_CI_sbrr_dirReg
	.globl	fft_rtc_back_len910_factors_13_2_7_5_wgs_182_tpt_91_half_ip_CI_sbrr_dirReg
	.p2align	8
	.type	fft_rtc_back_len910_factors_13_2_7_5_wgs_182_tpt_91_half_ip_CI_sbrr_dirReg,@function
fft_rtc_back_len910_factors_13_2_7_5_wgs_182_tpt_91_half_ip_CI_sbrr_dirReg: ; @fft_rtc_back_len910_factors_13_2_7_5_wgs_182_tpt_91_half_ip_CI_sbrr_dirReg
; %bb.0:
	s_load_dwordx2 s[2:3], s[4:5], 0x18
	s_load_dwordx4 s[8:11], s[4:5], 0x0
	s_load_dwordx2 s[14:15], s[4:5], 0x50
	v_mul_u32_u24_e32 v1, 0x2d1, v0
	v_lshrrev_b32_e32 v9, 16, v1
	s_waitcnt lgkmcnt(0)
	s_load_dwordx2 s[12:13], s[2:3], 0x0
	v_cmp_lt_u64_e64 s[0:1], s[10:11], 2
	v_mov_b32_e32 v3, 0
	v_mov_b32_e32 v1, 0
	v_lshl_add_u32 v5, s6, 1, v9
	v_mov_b32_e32 v6, v3
	s_and_b64 vcc, exec, s[0:1]
	v_mov_b32_e32 v2, 0
	s_cbranch_vccnz .LBB0_8
; %bb.1:
	s_load_dwordx2 s[0:1], s[4:5], 0x10
	s_add_u32 s6, s2, 8
	s_addc_u32 s7, s3, 0
	v_mov_b32_e32 v1, 0
	v_mov_b32_e32 v2, 0
	s_waitcnt lgkmcnt(0)
	s_add_u32 s16, s0, 8
	s_addc_u32 s17, s1, 0
	s_mov_b64 s[18:19], 1
.LBB0_2:                                ; =>This Inner Loop Header: Depth=1
	s_load_dwordx2 s[20:21], s[16:17], 0x0
                                        ; implicit-def: $vgpr7_vgpr8
	s_waitcnt lgkmcnt(0)
	v_or_b32_e32 v4, s21, v6
	v_cmp_ne_u64_e32 vcc, 0, v[3:4]
	s_and_saveexec_b64 s[0:1], vcc
	s_xor_b64 s[22:23], exec, s[0:1]
	s_cbranch_execz .LBB0_4
; %bb.3:                                ;   in Loop: Header=BB0_2 Depth=1
	v_cvt_f32_u32_e32 v4, s20
	v_cvt_f32_u32_e32 v7, s21
	s_sub_u32 s0, 0, s20
	s_subb_u32 s1, 0, s21
	v_mac_f32_e32 v4, 0x4f800000, v7
	v_rcp_f32_e32 v4, v4
	v_mul_f32_e32 v4, 0x5f7ffffc, v4
	v_mul_f32_e32 v7, 0x2f800000, v4
	v_trunc_f32_e32 v7, v7
	v_mac_f32_e32 v4, 0xcf800000, v7
	v_cvt_u32_f32_e32 v7, v7
	v_cvt_u32_f32_e32 v4, v4
	v_mul_lo_u32 v8, s0, v7
	v_mul_hi_u32 v10, s0, v4
	v_mul_lo_u32 v12, s1, v4
	v_mul_lo_u32 v11, s0, v4
	v_add_u32_e32 v8, v10, v8
	v_add_u32_e32 v8, v8, v12
	v_mul_hi_u32 v10, v4, v11
	v_mul_lo_u32 v12, v4, v8
	v_mul_hi_u32 v14, v4, v8
	v_mul_hi_u32 v13, v7, v11
	v_mul_lo_u32 v11, v7, v11
	v_mul_hi_u32 v15, v7, v8
	v_add_co_u32_e32 v10, vcc, v10, v12
	v_addc_co_u32_e32 v12, vcc, 0, v14, vcc
	v_mul_lo_u32 v8, v7, v8
	v_add_co_u32_e32 v10, vcc, v10, v11
	v_addc_co_u32_e32 v10, vcc, v12, v13, vcc
	v_addc_co_u32_e32 v11, vcc, 0, v15, vcc
	v_add_co_u32_e32 v8, vcc, v10, v8
	v_addc_co_u32_e32 v10, vcc, 0, v11, vcc
	v_add_co_u32_e32 v4, vcc, v4, v8
	v_addc_co_u32_e32 v7, vcc, v7, v10, vcc
	v_mul_lo_u32 v8, s0, v7
	v_mul_hi_u32 v10, s0, v4
	v_mul_lo_u32 v11, s1, v4
	v_mul_lo_u32 v12, s0, v4
	v_add_u32_e32 v8, v10, v8
	v_add_u32_e32 v8, v8, v11
	v_mul_lo_u32 v13, v4, v8
	v_mul_hi_u32 v14, v4, v12
	v_mul_hi_u32 v15, v4, v8
	v_mul_hi_u32 v11, v7, v12
	v_mul_lo_u32 v12, v7, v12
	v_mul_hi_u32 v10, v7, v8
	v_add_co_u32_e32 v13, vcc, v14, v13
	v_addc_co_u32_e32 v14, vcc, 0, v15, vcc
	v_mul_lo_u32 v8, v7, v8
	v_add_co_u32_e32 v12, vcc, v13, v12
	v_addc_co_u32_e32 v11, vcc, v14, v11, vcc
	v_addc_co_u32_e32 v10, vcc, 0, v10, vcc
	v_add_co_u32_e32 v8, vcc, v11, v8
	v_addc_co_u32_e32 v10, vcc, 0, v10, vcc
	v_add_co_u32_e32 v4, vcc, v4, v8
	v_addc_co_u32_e32 v10, vcc, v7, v10, vcc
	v_mad_u64_u32 v[7:8], s[0:1], v5, v10, 0
	v_mul_hi_u32 v11, v5, v4
	v_add_co_u32_e32 v12, vcc, v11, v7
	v_addc_co_u32_e32 v13, vcc, 0, v8, vcc
	v_mad_u64_u32 v[7:8], s[0:1], v6, v4, 0
	v_mad_u64_u32 v[10:11], s[0:1], v6, v10, 0
	v_add_co_u32_e32 v4, vcc, v12, v7
	v_addc_co_u32_e32 v4, vcc, v13, v8, vcc
	v_addc_co_u32_e32 v7, vcc, 0, v11, vcc
	v_add_co_u32_e32 v4, vcc, v4, v10
	v_addc_co_u32_e32 v10, vcc, 0, v7, vcc
	v_mul_lo_u32 v11, s21, v4
	v_mul_lo_u32 v12, s20, v10
	v_mad_u64_u32 v[7:8], s[0:1], s20, v4, 0
	v_add3_u32 v8, v8, v12, v11
	v_sub_u32_e32 v11, v6, v8
	v_mov_b32_e32 v12, s21
	v_sub_co_u32_e32 v7, vcc, v5, v7
	v_subb_co_u32_e64 v11, s[0:1], v11, v12, vcc
	v_subrev_co_u32_e64 v12, s[0:1], s20, v7
	v_subbrev_co_u32_e64 v11, s[0:1], 0, v11, s[0:1]
	v_cmp_le_u32_e64 s[0:1], s21, v11
	v_cndmask_b32_e64 v13, 0, -1, s[0:1]
	v_cmp_le_u32_e64 s[0:1], s20, v12
	v_cndmask_b32_e64 v12, 0, -1, s[0:1]
	v_cmp_eq_u32_e64 s[0:1], s21, v11
	v_cndmask_b32_e64 v11, v13, v12, s[0:1]
	v_add_co_u32_e64 v12, s[0:1], 2, v4
	v_addc_co_u32_e64 v13, s[0:1], 0, v10, s[0:1]
	v_add_co_u32_e64 v14, s[0:1], 1, v4
	v_addc_co_u32_e64 v15, s[0:1], 0, v10, s[0:1]
	v_subb_co_u32_e32 v8, vcc, v6, v8, vcc
	v_cmp_ne_u32_e64 s[0:1], 0, v11
	v_cmp_le_u32_e32 vcc, s21, v8
	v_cndmask_b32_e64 v11, v15, v13, s[0:1]
	v_cndmask_b32_e64 v13, 0, -1, vcc
	v_cmp_le_u32_e32 vcc, s20, v7
	v_cndmask_b32_e64 v7, 0, -1, vcc
	v_cmp_eq_u32_e32 vcc, s21, v8
	v_cndmask_b32_e32 v7, v13, v7, vcc
	v_cmp_ne_u32_e32 vcc, 0, v7
	v_cndmask_b32_e64 v7, v14, v12, s[0:1]
	v_cndmask_b32_e32 v8, v10, v11, vcc
	v_cndmask_b32_e32 v7, v4, v7, vcc
.LBB0_4:                                ;   in Loop: Header=BB0_2 Depth=1
	s_andn2_saveexec_b64 s[0:1], s[22:23]
	s_cbranch_execz .LBB0_6
; %bb.5:                                ;   in Loop: Header=BB0_2 Depth=1
	v_cvt_f32_u32_e32 v4, s20
	s_sub_i32 s22, 0, s20
	v_rcp_iflag_f32_e32 v4, v4
	v_mul_f32_e32 v4, 0x4f7ffffe, v4
	v_cvt_u32_f32_e32 v4, v4
	v_mul_lo_u32 v7, s22, v4
	v_mul_hi_u32 v7, v4, v7
	v_add_u32_e32 v4, v4, v7
	v_mul_hi_u32 v4, v5, v4
	v_mul_lo_u32 v7, v4, s20
	v_add_u32_e32 v8, 1, v4
	v_sub_u32_e32 v7, v5, v7
	v_subrev_u32_e32 v10, s20, v7
	v_cmp_le_u32_e32 vcc, s20, v7
	v_cndmask_b32_e32 v7, v7, v10, vcc
	v_cndmask_b32_e32 v4, v4, v8, vcc
	v_add_u32_e32 v8, 1, v4
	v_cmp_le_u32_e32 vcc, s20, v7
	v_cndmask_b32_e32 v7, v4, v8, vcc
	v_mov_b32_e32 v8, v3
.LBB0_6:                                ;   in Loop: Header=BB0_2 Depth=1
	s_or_b64 exec, exec, s[0:1]
	v_mul_lo_u32 v4, v8, s20
	v_mul_lo_u32 v12, v7, s21
	v_mad_u64_u32 v[10:11], s[0:1], v7, s20, 0
	s_load_dwordx2 s[0:1], s[6:7], 0x0
	s_add_u32 s18, s18, 1
	v_add3_u32 v4, v11, v12, v4
	v_sub_co_u32_e32 v5, vcc, v5, v10
	v_subb_co_u32_e32 v4, vcc, v6, v4, vcc
	s_waitcnt lgkmcnt(0)
	v_mul_lo_u32 v4, s0, v4
	v_mul_lo_u32 v6, s1, v5
	v_mad_u64_u32 v[1:2], s[0:1], s0, v5, v[1:2]
	s_addc_u32 s19, s19, 0
	s_add_u32 s6, s6, 8
	v_add3_u32 v2, v6, v2, v4
	v_mov_b32_e32 v4, s10
	v_mov_b32_e32 v5, s11
	s_addc_u32 s7, s7, 0
	v_cmp_ge_u64_e32 vcc, s[18:19], v[4:5]
	s_add_u32 s16, s16, 8
	s_addc_u32 s17, s17, 0
	s_cbranch_vccnz .LBB0_9
; %bb.7:                                ;   in Loop: Header=BB0_2 Depth=1
	v_mov_b32_e32 v5, v7
	v_mov_b32_e32 v6, v8
	s_branch .LBB0_2
.LBB0_8:
	v_mov_b32_e32 v8, v6
	v_mov_b32_e32 v7, v5
.LBB0_9:
	s_lshl_b64 s[0:1], s[10:11], 3
	s_add_u32 s0, s2, s0
	s_addc_u32 s1, s3, s1
	s_load_dwordx2 s[2:3], s[0:1], 0x0
	s_load_dwordx2 s[6:7], s[4:5], 0x20
                                        ; implicit-def: $vgpr6
                                        ; implicit-def: $vgpr10
                                        ; implicit-def: $vgpr11
                                        ; implicit-def: $vgpr12
                                        ; implicit-def: $vgpr13
                                        ; implicit-def: $vgpr14
                                        ; implicit-def: $vgpr16
                                        ; implicit-def: $vgpr17
                                        ; implicit-def: $vgpr18
                                        ; implicit-def: $vgpr23
	s_waitcnt lgkmcnt(0)
	v_mad_u64_u32 v[1:2], s[0:1], s2, v7, v[1:2]
	s_mov_b32 s0, 0x2d02d03
	v_mul_lo_u32 v3, s2, v8
	v_mul_lo_u32 v4, s3, v7
	v_mul_hi_u32 v5, v0, s0
	v_cmp_gt_u64_e32 vcc, s[6:7], v[7:8]
	s_movk_i32 s0, 0x46
	v_add3_u32 v2, v4, v2, v3
	v_mul_u32_u24_e32 v3, 0x5b, v5
	v_sub_u32_e32 v15, v0, v3
	v_cmp_gt_u32_e64 s[0:1], s0, v15
	v_lshlrev_b64 v[0:1], 2, v[1:2]
	s_and_b64 s[2:3], vcc, s[0:1]
	v_mov_b32_e32 v4, 0
                                        ; implicit-def: $vgpr7
                                        ; implicit-def: $vgpr8
	s_and_saveexec_b64 s[4:5], s[2:3]
	s_cbranch_execz .LBB0_11
; %bb.10:
	v_mad_u64_u32 v[2:3], s[2:3], s12, v15, 0
	v_add_u32_e32 v7, 0x46, v15
	v_mov_b32_e32 v6, s15
	v_mad_u64_u32 v[3:4], s[2:3], s13, v15, v[3:4]
	v_mad_u64_u32 v[4:5], s[2:3], s12, v7, 0
	v_add_co_u32_e64 v13, s[2:3], s14, v0
	v_addc_co_u32_e64 v14, s[2:3], v6, v1, s[2:3]
	v_mad_u64_u32 v[5:6], s[2:3], s13, v7, v[5:6]
	v_add_u32_e32 v8, 0x8c, v15
	v_mad_u64_u32 v[6:7], s[2:3], s12, v8, 0
	v_lshlrev_b64 v[2:3], 2, v[2:3]
	v_lshlrev_b64 v[4:5], 2, v[4:5]
	v_add_co_u32_e64 v2, s[2:3], v13, v2
	v_addc_co_u32_e64 v3, s[2:3], v14, v3, s[2:3]
	v_mad_u64_u32 v[7:8], s[2:3], s13, v8, v[7:8]
	v_add_u32_e32 v8, 0xd2, v15
	v_mad_u64_u32 v[10:11], s[2:3], s12, v8, 0
	v_add_co_u32_e64 v19, s[2:3], v13, v4
	v_addc_co_u32_e64 v20, s[2:3], v14, v5, s[2:3]
	v_lshlrev_b64 v[4:5], 2, v[6:7]
	v_mov_b32_e32 v6, v11
	v_mad_u64_u32 v[6:7], s[2:3], s13, v8, v[6:7]
	v_add_u32_e32 v12, 0x118, v15
	v_mad_u64_u32 v[7:8], s[2:3], s12, v12, 0
	v_add_co_u32_e64 v21, s[2:3], v13, v4
	v_mov_b32_e32 v11, v6
	v_mov_b32_e32 v6, v8
	v_addc_co_u32_e64 v22, s[2:3], v14, v5, s[2:3]
	v_lshlrev_b64 v[4:5], 2, v[10:11]
	v_mad_u64_u32 v[10:11], s[2:3], s13, v12, v[6:7]
	v_add_u32_e32 v16, 0x15e, v15
	v_mad_u64_u32 v[11:12], s[2:3], s12, v16, 0
	v_add_co_u32_e64 v24, s[2:3], v13, v4
	v_mov_b32_e32 v8, v10
	v_mov_b32_e32 v6, v12
	v_addc_co_u32_e64 v25, s[2:3], v14, v5, s[2:3]
	v_lshlrev_b64 v[4:5], 2, v[7:8]
	;; [unrolled: 8-line block ×9, first 2 shown]
	v_mad_u64_u32 v[10:11], s[2:3], s13, v10, v[6:7]
	v_add_co_u32_e64 v40, s[2:3], v13, v4
	v_mov_b32_e32 v8, v10
	v_addc_co_u32_e64 v41, s[2:3], v14, v5, s[2:3]
	v_lshlrev_b64 v[4:5], 2, v[7:8]
	v_add_co_u32_e64 v42, s[2:3], v13, v4
	v_addc_co_u32_e64 v43, s[2:3], v14, v5, s[2:3]
	global_load_dword v4, v[2:3], off
	global_load_dword v16, v[19:20], off
	;; [unrolled: 1-line block ×13, first 2 shown]
.LBB0_11:
	s_or_b64 exec, exec, s[4:5]
	s_waitcnt vmcnt(0)
	v_pk_add_f16 v47, v16, v17 neg_lo:[0,1] neg_hi:[0,1]
	v_lshrrev_b32_e32 v35, 16, v47
	v_pk_add_f16 v51, v13, v14 neg_lo:[0,1] neg_hi:[0,1]
	v_pk_add_f16 v24, v16, v17
	s_movk_i32 s4, 0x3b15
	v_mul_f16_e32 v26, 0xb770, v35
	v_lshrrev_b32_e32 v39, 16, v51
	v_fma_f16 v2, v24, s4, -v26
	s_movk_i32 s5, 0x388b
	v_mul_f16_e32 v30, 0xba95, v35
	v_pk_add_f16 v25, v13, v14
	v_mul_f16_e32 v28, 0xba95, v39
	v_pk_add_f16 v58, v18, v23 neg_lo:[0,1] neg_hi:[0,1]
	v_add_f16_e32 v2, v4, v2
	v_fma_f16 v3, v24, s5, -v30
	v_fma_f16 v5, v25, s5, -v28
	s_mov_b32 s7, 0xb5ac
	v_mul_f16_e32 v33, 0xbb7b, v39
	v_lshrrev_b32_e32 v42, 16, v58
	v_add_f16_e32 v3, v4, v3
	s_movk_i32 s6, 0x2fb7
	v_add_f16_e32 v2, v5, v2
	v_fma_f16 v5, v25, s7, -v33
	v_pk_add_f16 v27, v18, v23
	v_mul_f16_e32 v31, 0xbbf1, v42
	v_pk_add_f16 v66, v11, v12 neg_lo:[0,1] neg_hi:[0,1]
	v_add_f16_e32 v3, v5, v3
	s_mov_b32 s10, 0xbbc4
	v_fma_f16 v5, v27, s6, -v31
	v_mul_f16_e32 v37, 0xb3a8, v42
	v_lshrrev_b32_e32 v44, 16, v66
	v_add_f16_e32 v2, v2, v5
	v_fma_f16 v5, v27, s10, -v37
	v_pk_add_f16 v29, v11, v12
	v_mul_f16_e32 v34, 0xbb7b, v44
	v_pk_add_f16 v75, v8, v10 neg_lo:[0,1] neg_hi:[0,1]
	v_add_f16_e32 v3, v3, v5
	v_fma_f16 v5, v29, s7, -v34
	s_mov_b32 s11, 0xb9fd
	v_mul_f16_e32 v40, 0x394e, v44
	v_lshrrev_b32_e32 v49, 16, v75
	v_add_f16_e32 v2, v5, v2
	v_fma_f16 v5, v29, s11, -v40
	v_pk_add_f16 v32, v8, v10
	v_mul_f16_e32 v38, 0xb94e, v49
	v_pk_add_f16 v79, v6, v7 neg_lo:[0,1] neg_hi:[0,1]
	v_add_f16_e32 v3, v5, v3
	v_fma_f16 v5, v32, s11, -v38
	v_mul_f16_e32 v43, 0x3bf1, v49
	v_lshrrev_b32_e32 v55, 16, v79
	v_add_f16_e32 v2, v5, v2
	v_fma_f16 v5, v32, s6, -v43
	v_pk_add_f16 v36, v6, v7
	v_mul_f16_e32 v41, 0xb3a8, v55
	v_add_f16_e32 v5, v5, v3
	v_fma_f16 v3, v36, s10, -v41
	v_mul_f16_e32 v45, 0x3770, v55
	v_add_f16_e32 v3, v3, v2
	v_fma_f16 v2, v36, s4, -v45
	v_lshrrev_b32_e32 v72, 16, v24
	v_mul_f16_e32 v46, 0xb770, v47
	v_add_f16_e32 v2, v2, v5
	v_fma_f16 v5, v72, s4, v46
	v_lshrrev_b32_e32 v73, 16, v25
	v_mul_f16_e32 v48, 0xba95, v51
	v_add_f16_sdwa v5, v4, v5 dst_sel:DWORD dst_unused:UNUSED_PAD src0_sel:WORD_1 src1_sel:DWORD
	v_fma_f16 v19, v73, s5, v48
	v_mul_f16_e32 v52, 0xba95, v47
	v_add_f16_e32 v5, v19, v5
	v_fma_f16 v19, v72, s5, v52
	v_mul_f16_e32 v53, 0xbb7b, v51
	v_add_f16_sdwa v19, v4, v19 dst_sel:DWORD dst_unused:UNUSED_PAD src0_sel:WORD_1 src1_sel:DWORD
	v_fma_f16 v20, v73, s7, v53
	v_mul_f16_e32 v57, 0xbbf1, v35
	v_add_f16_e32 v19, v20, v19
	v_fma_f16 v20, v24, s6, -v57
	v_mul_f16_e32 v60, 0xb3a8, v39
	v_add_f16_e32 v20, v4, v20
	v_fma_f16 v21, v25, s10, -v60
	v_mul_f16_e32 v64, 0xbbf1, v47
	v_add_f16_e32 v20, v21, v20
	v_fma_f16 v21, v72, s6, v64
	v_mul_f16_e32 v65, 0xb3a8, v51
	v_add_f16_sdwa v21, v4, v21 dst_sel:DWORD dst_unused:UNUSED_PAD src0_sel:WORD_1 src1_sel:DWORD
	v_fma_f16 v22, v73, s10, v65
	v_lshrrev_b32_e32 v77, 16, v27
	v_mul_f16_e32 v50, 0xbbf1, v58
	v_add_f16_e32 v21, v22, v21
	v_fma_f16 v22, v77, s6, v50
	v_mul_f16_e32 v59, 0xb3a8, v58
	v_add_f16_e32 v5, v5, v22
	v_fma_f16 v22, v77, s10, v59
	v_mul_f16_e32 v63, 0x3b7b, v42
	v_add_f16_e32 v19, v19, v22
	v_fma_f16 v22, v27, s7, -v63
	v_mul_f16_e32 v69, 0x3b7b, v58
	v_add_f16_e32 v20, v20, v22
	v_fma_f16 v22, v77, s7, v69
	v_lshrrev_b32_e32 v80, 16, v29
	v_mul_f16_e32 v54, 0xbb7b, v66
	v_add_f16_e32 v21, v21, v22
	v_fma_f16 v22, v80, s7, v54
	v_mul_f16_e32 v62, 0x394e, v66
	v_add_f16_e32 v5, v22, v5
	v_fma_f16 v22, v80, s11, v62
	v_mul_f16_e32 v68, 0x3770, v44
	v_add_f16_e32 v19, v22, v19
	v_fma_f16 v22, v29, s4, -v68
	v_mul_f16_e32 v74, 0x3770, v66
	v_add_f16_e32 v20, v22, v20
	;; [unrolled: 13-line block ×3, first 2 shown]
	v_fma_f16 v20, v81, s5, v76
	v_lshrrev_b32_e32 v82, 16, v36
	v_mul_f16_e32 v61, 0xb3a8, v79
	v_add_f16_e32 v22, v20, v21
	v_fma_f16 v20, v82, s10, v61
	v_mul_f16_e32 v70, 0x3770, v79
	v_add_f16_e32 v20, v20, v5
	v_fma_f16 v5, v82, s4, v70
	;; [unrolled: 3-line block ×3, first 2 shown]
	v_add_f16_e32 v22, v5, v22
	v_and_b32_e32 v5, 1, v9
	v_mov_b32_e32 v9, 0x38e
	v_cmp_eq_u32_e64 s[2:3], 1, v5
	v_cndmask_b32_e64 v19, 0, v9, s[2:3]
	v_mul_f16_e32 v9, 0xb94e, v55
	v_fma_f16 v5, v36, s11, -v9
	s_mov_b32 s24, 0xb770
	s_mov_b32 s20, 0xba95
	;; [unrolled: 1-line block ×5, first 2 shown]
	s_movk_i32 s25, 0x3b7b
	s_movk_i32 s19, 0x394e
	s_movk_i32 s17, 0x3770
	s_mov_b32 s22, 0xb94e
	s_movk_i32 s21, 0x3bf1
	v_add_f16_e32 v5, v5, v83
	v_lshlrev_b32_e32 v19, 2, v19
	s_and_saveexec_b64 s[2:3], s[0:1]
	s_cbranch_execz .LBB0_13
; %bb.12:
	v_mul_f16_e32 v95, 0xbb7b, v47
	v_fma_f16 v96, v72, s7, v95
	v_mul_f16_e32 v97, 0x394e, v51
	v_add_f16_sdwa v96, v4, v96 dst_sel:DWORD dst_unused:UNUSED_PAD src0_sel:WORD_1 src1_sel:DWORD
	v_fma_f16 v98, v73, s11, v97
	v_add_f16_e32 v96, v98, v96
	v_mul_f16_e32 v98, 0x3770, v58
	v_fma_f16 v99, v77, s4, v98
	v_add_f16_e32 v96, v96, v99
	v_mul_f16_e32 v99, 0xbbf1, v66
	;; [unrolled: 3-line block ×5, first 2 shown]
	v_fma_f16 v103, v35, s25, v102
	v_mul_f16_e32 v104, 0xb9fd, v25
	v_add_f16_e32 v103, v4, v103
	v_fma_f16 v105, v39, s22, v104
	v_add_f16_e32 v103, v105, v103
	v_mul_f16_e32 v105, 0x3b15, v27
	v_fma_f16 v106, v42, s24, v105
	v_add_f16_e32 v103, v103, v106
	v_mul_f16_e32 v106, 0x2fb7, v29
	v_fma_f16 v107, v44, s21, v106
	v_add_f16_e32 v103, v107, v103
	v_mul_f16_e32 v107, 0xbbc4, v32
	v_fma_f16 v108, v49, s23, v107
	v_add_f16_e32 v103, v108, v103
	v_mul_f16_e32 v108, 0x388b, v36
	v_fma_f16 v109, v55, s20, v108
	v_add_f16_e32 v103, v109, v103
	v_mul_f16_e32 v109, 0xb94e, v47
	v_fma_f16 v110, v72, s11, v109
	v_mul_f16_e32 v111, 0x3bf1, v51
	v_add_f16_sdwa v110, v4, v110 dst_sel:DWORD dst_unused:UNUSED_PAD src0_sel:WORD_1 src1_sel:DWORD
	v_fma_f16 v112, v73, s6, v111
	v_add_f16_e32 v110, v112, v110
	v_mul_f16_e32 v112, 0xba95, v58
	v_fma_f16 v113, v77, s5, v112
	v_add_f16_e32 v110, v110, v113
	v_mul_f16_e32 v113, 0x33a8, v66
	;; [unrolled: 3-line block ×5, first 2 shown]
	v_fma_f16 v117, v35, s19, v116
	v_mul_f16_e32 v118, 0x2fb7, v25
	v_fma_f16 v116, v35, s22, v116
	v_fma_f16 v35, v35, s18, v102
	v_add_f16_e32 v117, v4, v117
	v_fma_f16 v119, v39, s16, v118
	v_fma_f16 v109, v72, s11, -v109
	v_fma_f16 v118, v39, s21, v118
	v_fma_f16 v39, v39, s19, v104
	v_add_f16_e32 v35, v4, v35
	s_movk_i32 s0, 0x3a95
	v_add_f16_e32 v117, v119, v117
	v_mul_f16_e32 v119, 0x388b, v27
	v_add_f16_sdwa v109, v4, v109 dst_sel:DWORD dst_unused:UNUSED_PAD src0_sel:WORD_1 src1_sel:DWORD
	v_fma_f16 v111, v73, s6, -v111
	v_add_f16_e32 v35, v39, v35
	v_fma_f16 v39, v42, s17, v105
	v_fma_f16 v120, v42, s0, v119
	v_add_f16_e32 v109, v111, v109
	v_fma_f16 v112, v77, s5, -v112
	s_movk_i32 s1, 0x33a8
	v_add_f16_e32 v35, v35, v39
	v_fma_f16 v39, v44, s16, v106
	v_add_f16_e32 v117, v117, v120
	v_mul_f16_e32 v120, 0xbbc4, v29
	v_add_f16_e32 v109, v109, v112
	v_fma_f16 v113, v80, s10, -v113
	v_add_f16_e32 v116, v4, v116
	v_add_f16_e32 v35, v39, v35
	v_fma_f16 v39, v49, s1, v107
	v_mul_f16_e32 v84, 0x3b15, v72
	v_mul_f16_e32 v86, 0x388b, v72
	;; [unrolled: 1-line block ×3, first 2 shown]
	v_fma_f16 v121, v44, s23, v120
	v_add_f16_e32 v109, v113, v109
	v_fma_f16 v114, v81, s4, -v114
	v_add_f16_e32 v116, v118, v116
	v_fma_f16 v119, v42, s20, v119
	v_fma_f16 v72, v72, s7, -v95
	v_add_f16_e32 v35, v39, v35
	v_fma_f16 v39, v55, s0, v108
	v_mul_f16_e32 v90, 0x388b, v73
	v_mul_f16_e32 v92, 0xb5ac, v73
	;; [unrolled: 1-line block ×3, first 2 shown]
	v_add_f16_e32 v117, v121, v117
	v_mul_f16_e32 v121, 0x3b15, v32
	v_add_f16_e32 v109, v114, v109
	v_fma_f16 v115, v82, s7, -v115
	v_add_f16_e32 v116, v116, v119
	v_fma_f16 v120, v44, s1, v120
	v_fma_f16 v73, v73, s11, -v97
	v_add_f16_sdwa v72, v4, v72 dst_sel:DWORD dst_unused:UNUSED_PAD src0_sel:WORD_1 src1_sel:DWORD
	v_add_f16_e32 v35, v39, v35
	v_sub_f16_e32 v39, v88, v64
	v_fma_f16 v122, v49, s24, v121
	v_mul_f16_e32 v111, 0x2fb7, v77
	v_mul_f16_e32 v113, 0xbbc4, v77
	v_add_f16_e32 v109, v115, v109
	v_mul_f16_e32 v115, 0xb5ac, v77
	v_add_f16_e32 v116, v120, v116
	v_fma_f16 v121, v49, s17, v121
	v_add_f16_e32 v72, v73, v72
	v_fma_f16 v77, v77, s4, -v98
	v_add_f16_sdwa v39, v4, v39 dst_sel:DWORD dst_unused:UNUSED_PAD src0_sel:WORD_1 src1_sel:DWORD
	v_sub_f16_e32 v42, v94, v65
	v_mul_f16_e32 v119, 0xb5ac, v80
	v_add_f16_e32 v116, v121, v116
	v_mul_f16_e32 v121, 0xb9fd, v80
	v_mul_f16_e32 v95, 0x3b15, v80
	v_add_f16_e32 v72, v72, v77
	v_fma_f16 v80, v80, s6, -v99
	v_add_f16_e32 v39, v42, v39
	v_sub_f16_e32 v42, v115, v69
	v_mul_f16_e32 v73, 0xb9fd, v81
	v_mul_f16_e32 v77, 0x2fb7, v81
	v_add_f16_e32 v72, v80, v72
	v_mul_f16_e32 v80, 0x388b, v81
	v_fma_f16 v81, v81, s10, -v100
	v_add_f16_e32 v39, v39, v42
	v_sub_f16_e32 v42, v95, v74
	v_add_f16_e32 v72, v81, v72
	v_mul_f16_e32 v81, 0xbbc4, v82
	v_fma_f16 v101, v82, s5, -v101
	v_mul_f16_e32 v102, 0x3b15, v82
	v_mul_f16_e32 v82, 0xb9fd, v82
	v_add_f16_e32 v39, v42, v39
	v_sub_f16_e32 v42, v80, v76
	v_mul_f16_e32 v85, 0x388b, v24
	v_mul_f16_e32 v87, 0x2fb7, v24
	v_add_f16_e32 v117, v122, v117
	v_mul_f16_e32 v122, 0xb5ac, v36
	v_add_f16_e32 v39, v42, v39
	v_sub_f16_e32 v42, v82, v78
	v_mul_f16_e32 v91, 0xb5ac, v25
	v_mul_f16_e32 v93, 0xbbc4, v25
	v_fma_f16 v123, v55, s25, v122
	v_pk_mul_f16 v47, v47, s23 op_sel_hi:[1,0]
	v_add_f16_e32 v39, v42, v39
	v_add_f16_e32 v42, v57, v87
	;; [unrolled: 1-line block ×4, first 2 shown]
	v_pk_fma_f16 v123, v24, s10, v47 op_sel:[0,0,1] op_sel_hi:[1,0,0]
	v_pk_mul_f16 v51, v51, s17 op_sel_hi:[1,0]
	v_mul_f16_e32 v112, 0xbbc4, v27
	v_mul_f16_e32 v114, 0xb5ac, v27
	v_fma_f16 v122, v55, s18, v122
	v_add_f16_e32 v42, v4, v42
	v_add_f16_e32 v44, v60, v93
	;; [unrolled: 1-line block ×4, first 2 shown]
	v_pk_add_f16 v123, v4, v123
	v_pk_fma_f16 v124, v25, s4, v51 op_sel:[0,0,1] op_sel_hi:[1,0,0]
	v_pk_mul_f16 v58, v58, s22 op_sel_hi:[1,0]
	v_mul_f16_e32 v120, 0xb9fd, v29
	v_add_f16_e32 v116, v122, v116
	v_mul_f16_e32 v122, 0x3b15, v29
	v_add_f16_e32 v42, v44, v42
	v_add_f16_e32 v44, v63, v114
	;; [unrolled: 1-line block ×4, first 2 shown]
	v_pk_add_f16 v123, v124, v123
	v_pk_fma_f16 v124, v27, s11, v58 op_sel:[0,0,1] op_sel_hi:[1,0,0]
	v_pk_mul_f16 v66, v66, s0 op_sel_hi:[1,0]
	v_mul_f16_e32 v98, 0x2fb7, v32
	v_mul_f16_e32 v99, 0x388b, v32
	v_add_f16_e32 v42, v42, v44
	v_add_f16_e32 v44, v68, v122
	;; [unrolled: 1-line block ×4, first 2 shown]
	v_pk_add_f16 v123, v123, v124
	v_pk_fma_f16 v124, v29, s5, v66 op_sel:[0,0,1] op_sel_hi:[1,0,0]
	v_pk_mul_f16 v75, v75, s18 op_sel_hi:[1,0]
	v_add_f16_e32 v72, v101, v72
	v_mul_f16_e32 v101, 0x3b15, v36
	v_mul_f16_e32 v104, 0xb9fd, v36
	v_add_f16_e32 v42, v44, v42
	v_add_f16_e32 v44, v71, v99
	;; [unrolled: 1-line block ×4, first 2 shown]
	v_pk_add_f16 v16, v4, v16
	v_mul_f16_e32 v83, 0x3b15, v24
	v_pk_add_f16 v123, v124, v123
	v_pk_fma_f16 v124, v32, s7, v75 op_sel:[0,0,1] op_sel_hi:[1,0,0]
	v_pk_mul_f16 v79, v79, s21 op_sel_hi:[1,0]
	v_add_f16_e32 v42, v44, v42
	v_add_f16_e32 v9, v9, v104
	;; [unrolled: 1-line block ×4, first 2 shown]
	v_pk_add_f16 v13, v16, v13
	v_mul_f16_e32 v89, 0x388b, v25
	v_pk_add_f16 v123, v124, v123
	v_pk_fma_f16 v124, v36, s6, v79 op_sel:[0,0,1] op_sel_hi:[1,0,0]
	v_add_f16_e32 v9, v9, v42
	v_sub_f16_e32 v42, v86, v52
	v_add_f16_e32 v30, v33, v30
	v_sub_f16_e32 v33, v84, v46
	v_add_f16_e32 v26, v26, v83
	v_pk_add_f16 v13, v13, v18
	v_pk_add_f16 v123, v124, v123
	v_mul_f16_e32 v124, 0x2fb7, v27
	v_add_f16_sdwa v42, v4, v42 dst_sel:DWORD dst_unused:UNUSED_PAD src0_sel:WORD_1 src1_sel:DWORD
	v_sub_f16_e32 v44, v92, v53
	v_add_f16_sdwa v33, v4, v33 dst_sel:DWORD dst_unused:UNUSED_PAD src0_sel:WORD_1 src1_sel:DWORD
	v_sub_f16_e32 v37, v90, v48
	v_add_f16_e32 v26, v4, v26
	v_add_f16_e32 v28, v28, v89
	v_pk_add_f16 v11, v13, v11
	v_mul_f16_e32 v118, 0xb5ac, v29
	v_add_f16_e32 v42, v44, v42
	v_sub_f16_e32 v44, v113, v59
	v_add_f16_e32 v33, v37, v33
	v_sub_f16_e32 v37, v111, v50
	v_add_f16_e32 v26, v28, v26
	v_add_f16_e32 v28, v31, v124
	v_pk_add_f16 v8, v11, v8
	v_mul_f16_e32 v97, 0xb9fd, v32
	v_add_f16_e32 v42, v42, v44
	v_sub_f16_e32 v44, v121, v62
	v_add_f16_e32 v33, v33, v37
	;; [unrolled: 8-line block ×3, first 2 shown]
	v_sub_f16_e32 v37, v73, v56
	v_add_f16_e32 v26, v28, v26
	v_add_f16_e32 v28, v38, v97
	v_pk_add_f16 v6, v6, v7
	v_add_f16_e32 v42, v44, v42
	v_sub_f16_e32 v44, v102, v70
	v_add_f16_e32 v33, v37, v33
	v_sub_f16_e32 v37, v81, v61
	v_add_f16_e32 v26, v28, v26
	v_add_f16_e32 v28, v41, v100
	v_pk_add_f16 v6, v6, v10
	v_add_f16_e32 v42, v44, v42
	v_add_f16_e32 v33, v37, v33
	;; [unrolled: 1-line block ×3, first 2 shown]
	v_pk_add_f16 v6, v6, v12
	v_mul_u32_u24_e32 v7, 52, v15
	v_pk_add_f16 v6, v6, v23
	v_add3_u32 v7, 0, v7, v19
	v_pack_b32_f16 v8, v30, v42
	v_pack_b32_f16 v10, v26, v33
	v_pk_add_f16 v6, v14, v6
	ds_write2_b32 v7, v10, v8 offset0:1 offset1:2
	v_pack_b32_f16 v8, v9, v39
	v_pack_b32_f16 v9, v35, v72
	v_pk_add_f16 v6, v17, v6
	ds_write2_b32 v7, v8, v9 offset0:3 offset1:4
	v_pack_b32_f16 v8, v116, v109
	ds_write2_b32 v7, v6, v8 offset1:5
	v_pk_fma_f16 v6, v24, s10, v47 op_sel:[0,0,1] op_sel_hi:[1,0,0] neg_lo:[0,0,1] neg_hi:[0,0,1]
	v_pk_add_f16 v4, v4, v6
	v_pk_fma_f16 v6, v25, s4, v51 op_sel:[0,0,1] op_sel_hi:[1,0,0] neg_lo:[0,0,1] neg_hi:[0,0,1]
	v_pk_add_f16 v4, v6, v4
	;; [unrolled: 2-line block ×6, first 2 shown]
	s_mov_b32 s0, 0xffff
	v_bfi_b32 v6, s0, v4, v123
	v_bfi_b32 v4, s0, v123, v4
	ds_write2_b32 v7, v4, v6 offset0:6 offset1:7
	v_pack_b32_f16 v4, v103, v96
	v_pack_b32_f16 v6, v117, v110
	s_mov_b32 s0, 0x5040100
	ds_write2_b32 v7, v6, v4 offset0:8 offset1:9
	v_perm_b32 v4, v21, v2, s0
	v_perm_b32 v6, v22, v5, s0
	ds_write2_b32 v7, v6, v4 offset0:10 offset1:11
	v_perm_b32 v4, v20, v3, s0
	ds_write_b32 v7, v4 offset:48
.LBB0_13:
	s_or_b64 exec, exec, s[2:3]
	v_add_u32_e32 v16, 0x5b, v15
	s_movk_i32 s0, 0x4f
	v_add_u32_e32 v4, 0x111, v15
	v_mul_lo_u16_sdwa v33, v15, s0 dst_sel:DWORD dst_unused:UNUSED_PAD src0_sel:BYTE_0 src1_sel:DWORD
	v_mul_lo_u16_sdwa v25, v16, s0 dst_sel:DWORD dst_unused:UNUSED_PAD src0_sel:BYTE_0 src1_sel:DWORD
	s_movk_i32 s0, 0x4ec5
	v_mul_u32_u24_sdwa v9, v4, s0 dst_sel:DWORD dst_unused:UNUSED_PAD src0_sel:WORD_0 src1_sel:DWORD
	v_lshrrev_b32_e32 v30, 18, v9
	v_add_u32_e32 v17, 0x16c, v15
	v_mul_lo_u16_e32 v9, 13, v30
	v_add_u32_e32 v18, 0xb6, v15
	v_sub_u16_e32 v4, v4, v9
	v_mul_u32_u24_sdwa v9, v17, s0 dst_sel:DWORD dst_unused:UNUSED_PAD src0_sel:WORD_0 src1_sel:DWORD
	v_mul_u32_u24_sdwa v8, v18, s0 dst_sel:DWORD dst_unused:UNUSED_PAD src0_sel:WORD_0 src1_sel:DWORD
	v_lshrrev_b32_e32 v31, 18, v9
	v_lshrrev_b16_e32 v26, 10, v33
	v_lshrrev_b16_e32 v28, 10, v25
	v_lshrrev_b32_e32 v29, 18, v8
	v_mul_lo_u16_e32 v9, 13, v31
	v_mul_lo_u16_e32 v6, 13, v26
	;; [unrolled: 1-line block ×4, first 2 shown]
	v_sub_u16_e32 v9, v17, v9
	v_sub_u16_e32 v6, v15, v6
	;; [unrolled: 1-line block ×4, first 2 shown]
	v_mov_b32_e32 v27, 2
	v_lshlrev_b32_e32 v38, 2, v9
	s_waitcnt lgkmcnt(0)
	s_barrier
	v_lshlrev_b32_sdwa v32, v27, v6 dst_sel:DWORD dst_unused:UNUSED_PAD src0_sel:DWORD src1_sel:BYTE_0
	v_lshlrev_b32_sdwa v36, v27, v7 dst_sel:DWORD dst_unused:UNUSED_PAD src0_sel:DWORD src1_sel:BYTE_0
	v_lshlrev_b32_e32 v37, 2, v8
	v_lshlrev_b32_e32 v4, 2, v4
	global_load_dword v39, v38, s[8:9]
	global_load_dword v40, v4, s[8:9]
	;; [unrolled: 1-line block ×5, first 2 shown]
	v_lshlrev_b32_e32 v6, 2, v15
	v_add3_u32 v23, 0, v19, v6
	v_add3_u32 v24, 0, v6, v19
	v_add_u32_e32 v44, 0x600, v24
	ds_read2_b32 v[9:10], v24 offset0:91 offset1:182
	v_add_u32_e32 v34, 0x800, v24
	v_add_u32_e32 v35, 0x400, v24
	ds_read_b32 v45, v23
	ds_read_b32 v46, v24 offset:3276
	ds_read2_b32 v[7:8], v44 offset0:71 offset1:162
	ds_read2_b32 v[11:12], v34 offset0:125 offset1:216
	;; [unrolled: 1-line block ×3, first 2 shown]
	s_movk_i32 s1, 0x68
	v_mad_u32_u24 v30, v30, s1, 0
	v_mad_u32_u24 v26, v26, s1, 0
	;; [unrolled: 1-line block ×4, first 2 shown]
	v_add3_u32 v30, v30, v4, v19
	s_mov_b32 s0, 0xffff
	v_mad_u32_u24 v31, v31, s1, 0
	v_add3_u32 v26, v26, v32, v19
	v_add3_u32 v28, v28, v36, v19
	;; [unrolled: 1-line block ×4, first 2 shown]
	s_waitcnt vmcnt(0) lgkmcnt(0)
	s_barrier
	v_pk_mul_f16 v4, v39, v46 op_sel:[0,1]
	v_pk_mul_f16 v32, v40, v12 op_sel:[0,1]
	;; [unrolled: 1-line block ×4, first 2 shown]
	v_pk_fma_f16 v47, v39, v46, v4 op_sel:[0,0,1] op_sel_hi:[1,1,0]
	v_pk_fma_f16 v4, v39, v46, v4 op_sel:[0,0,1] op_sel_hi:[1,0,0] neg_lo:[1,0,0] neg_hi:[1,0,0]
	v_pk_mul_f16 v38, v43, v7 op_sel:[0,1]
	v_pk_fma_f16 v39, v40, v12, v32 op_sel:[0,0,1] op_sel_hi:[1,1,0]
	v_pk_fma_f16 v12, v40, v12, v32 op_sel:[0,0,1] op_sel_hi:[1,0,0] neg_lo:[1,0,0] neg_hi:[1,0,0]
	v_pk_fma_f16 v32, v41, v11, v36 op_sel:[0,0,1] op_sel_hi:[1,1,0]
	v_pk_fma_f16 v11, v41, v11, v36 op_sel:[0,0,1] op_sel_hi:[1,0,0] neg_lo:[1,0,0] neg_hi:[1,0,0]
	;; [unrolled: 2-line block ×3, first 2 shown]
	v_bfi_b32 v4, s0, v47, v4
	v_pk_fma_f16 v37, v43, v7, v38 op_sel:[0,0,1] op_sel_hi:[1,1,0]
	v_pk_fma_f16 v38, v43, v7, v38 op_sel:[0,0,1] op_sel_hi:[1,0,0] neg_lo:[1,0,0] neg_hi:[1,0,0]
	v_bfi_b32 v8, s0, v36, v8
	v_pk_add_f16 v4, v14, v4 neg_lo:[0,1] neg_hi:[0,1]
	v_bfi_b32 v7, s0, v39, v12
	v_pk_add_f16 v12, v9, v8 neg_lo:[0,1] neg_hi:[0,1]
	v_pk_fma_f16 v8, v14, 2.0, v4 op_sel_hi:[1,0,1] neg_lo:[0,0,1] neg_hi:[0,0,1]
	v_bfi_b32 v14, s0, v37, v38
	v_bfi_b32 v11, s0, v32, v11
	v_pk_add_f16 v14, v45, v14 neg_lo:[0,1] neg_hi:[0,1]
	v_pk_add_f16 v7, v13, v7 neg_lo:[0,1] neg_hi:[0,1]
	;; [unrolled: 1-line block ×3, first 2 shown]
	v_pk_fma_f16 v9, v9, 2.0, v12 op_sel_hi:[1,0,1] neg_lo:[0,0,1] neg_hi:[0,0,1]
	v_pk_fma_f16 v32, v45, 2.0, v14 op_sel_hi:[1,0,1] neg_lo:[0,0,1] neg_hi:[0,0,1]
	;; [unrolled: 1-line block ×4, first 2 shown]
	ds_write2_b32 v26, v32, v14 offset1:13
	ds_write2_b32 v28, v9, v12 offset1:13
	;; [unrolled: 1-line block ×5, first 2 shown]
	v_add_u32_e32 v9, 0x200, v24
	v_add_u32_e32 v11, 0xa00, v24
	s_waitcnt lgkmcnt(0)
	s_barrier
	ds_read_b32 v32, v23
	ds_read2_b32 v[13:14], v9 offset0:2 offset1:132
	ds_read2_b32 v[9:10], v44 offset0:6 offset1:136
	;; [unrolled: 1-line block ×3, first 2 shown]
	v_cmp_gt_u32_e64 s[0:1], 39, v15
	v_lshrrev_b32_e32 v29, 16, v8
	v_lshrrev_b32_e32 v28, 16, v4
	;; [unrolled: 1-line block ×3, first 2 shown]
                                        ; implicit-def: $vgpr30
                                        ; implicit-def: $vgpr31
	s_and_saveexec_b64 s[2:3], s[0:1]
	s_cbranch_execz .LBB0_15
; %bb.14:
	ds_read2_b32 v[7:8], v24 offset0:91 offset1:221
	ds_read2_b32 v[4:5], v35 offset0:95 offset1:225
	;; [unrolled: 1-line block ×3, first 2 shown]
	ds_read_u16 v28, v24 offset:1406
	ds_read_b32 v31, v24 offset:3484
	s_waitcnt lgkmcnt(4)
	v_lshrrev_b32_e32 v26, 16, v7
	s_waitcnt lgkmcnt(3)
	v_lshrrev_b32_e32 v22, 16, v5
	;; [unrolled: 2-line block ×3, first 2 shown]
	v_lshrrev_b32_e32 v20, 16, v3
	s_waitcnt lgkmcnt(0)
	v_lshrrev_b32_e32 v30, 16, v31
	v_lshrrev_b32_e32 v29, 16, v8
.LBB0_15:
	s_or_b64 exec, exec, s[2:3]
	v_lshrrev_b16_e32 v40, 11, v33
	v_mul_lo_u16_e32 v33, 26, v40
	v_sub_u16_e32 v41, v15, v33
	v_mov_b32_e32 v33, 6
	v_mul_u32_u24_sdwa v34, v41, v33 dst_sel:DWORD dst_unused:UNUSED_PAD src0_sel:BYTE_0 src1_sel:DWORD
	v_lshlrev_b32_e32 v42, 2, v34
	global_load_dwordx4 v[34:37], v42, s[8:9] offset:52
	global_load_dwordx2 v[38:39], v42, s[8:9] offset:68
	s_waitcnt lgkmcnt(2)
	v_lshrrev_b32_e32 v42, 16, v13
	v_lshrrev_b32_e32 v43, 16, v14
	s_waitcnt lgkmcnt(0)
	v_lshrrev_b32_e32 v46, 16, v11
	v_lshrrev_b32_e32 v47, 16, v12
	;; [unrolled: 1-line block ×4, first 2 shown]
	s_movk_i32 s7, 0x2b26
	s_mov_b32 s4, 0xbb00
	s_mov_b32 s6, 0xbcab
	s_movk_i32 s5, 0x39e0
	s_mov_b32 s10, 0xb9e0
	s_mov_b32 s16, 0xb574
	s_movk_i32 s17, 0x3574
	s_mov_b32 s11, 0xb70e
	s_movk_i32 s18, 0x2d8
	v_lshlrev_b32_sdwa v27, v27, v41 dst_sel:DWORD dst_unused:UNUSED_PAD src0_sel:DWORD src1_sel:BYTE_0
	s_waitcnt vmcnt(0)
	s_barrier
	v_mul_f16_sdwa v48, v34, v42 dst_sel:DWORD dst_unused:UNUSED_PAD src0_sel:WORD_1 src1_sel:DWORD
	v_mul_f16_sdwa v49, v34, v13 dst_sel:DWORD dst_unused:UNUSED_PAD src0_sel:WORD_1 src1_sel:DWORD
	;; [unrolled: 1-line block ×12, first 2 shown]
	v_fma_f16 v13, v34, v13, v48
	v_fma_f16 v34, v34, v42, -v49
	v_fma_f16 v14, v35, v14, v50
	v_fma_f16 v35, v35, v43, -v51
	;; [unrolled: 2-line block ×6, first 2 shown]
	v_add_f16_e32 v42, v13, v12
	v_add_f16_e32 v43, v34, v39
	v_sub_f16_e32 v12, v13, v12
	v_sub_f16_e32 v13, v34, v39
	v_add_f16_e32 v34, v14, v11
	v_add_f16_e32 v39, v35, v38
	v_sub_f16_e32 v11, v14, v11
	v_sub_f16_e32 v14, v35, v38
	;; [unrolled: 4-line block ×4, first 2 shown]
	v_sub_f16_e32 v42, v42, v35
	v_sub_f16_e32 v43, v43, v38
	;; [unrolled: 1-line block ×4, first 2 shown]
	v_add_f16_e32 v46, v9, v11
	v_add_f16_e32 v47, v10, v14
	v_sub_f16_e32 v48, v9, v11
	v_sub_f16_e32 v49, v10, v14
	;; [unrolled: 1-line block ×4, first 2 shown]
	v_add_f16_e32 v35, v35, v36
	v_add_f16_e32 v36, v38, v37
	v_sub_f16_e32 v9, v12, v9
	v_sub_f16_e32 v10, v13, v10
	v_add_f16_e32 v12, v46, v12
	v_add_f16_e32 v13, v47, v13
	v_mul_f16_e32 v37, 0x3a52, v42
	v_mul_f16_e32 v38, 0x3a52, v43
	;; [unrolled: 1-line block ×8, first 2 shown]
	v_add_f16_e32 v50, v35, v32
	v_add_f16_sdwa v32, v36, v32 dst_sel:DWORD dst_unused:UNUSED_PAD src0_sel:DWORD src1_sel:WORD_1
	v_fma_f16 v34, v34, s7, v37
	v_fma_f16 v39, v39, s7, v38
	v_fma_f16 v42, v44, s5, -v42
	v_fma_f16 v43, v45, s5, -v43
	;; [unrolled: 1-line block ×3, first 2 shown]
	v_fma_f16 v35, v35, s6, v50
	v_fma_f16 v36, v36, s6, v32
	v_fma_f16 v38, v45, s10, -v38
	v_fma_f16 v44, v9, s16, v46
	v_fma_f16 v45, v10, s16, v47
	v_fma_f16 v11, v11, s4, -v46
	v_fma_f16 v14, v14, s4, -v47
	;; [unrolled: 1-line block ×4, first 2 shown]
	v_add_f16_e32 v34, v34, v35
	v_add_f16_e32 v39, v39, v36
	v_add_f16_e32 v42, v42, v35
	v_add_f16_e32 v43, v43, v36
	v_add_f16_e32 v35, v37, v35
	v_add_f16_e32 v36, v38, v36
	v_fma_f16 v37, v12, s11, v44
	v_fma_f16 v38, v13, s11, v45
	;; [unrolled: 1-line block ×6, first 2 shown]
	v_add_f16_e32 v12, v38, v34
	v_sub_f16_e32 v13, v39, v37
	v_add_f16_e32 v44, v10, v35
	v_sub_f16_e32 v45, v36, v9
	v_sub_f16_e32 v46, v42, v14
	v_add_f16_e32 v47, v11, v43
	v_add_f16_e32 v14, v14, v42
	v_sub_f16_e32 v11, v43, v11
	v_sub_f16_e32 v10, v35, v10
	v_add_f16_e32 v9, v9, v36
	v_mad_u32_u24 v36, v40, s18, 0
	v_sub_f16_e32 v34, v34, v38
	v_add_f16_e32 v35, v37, v39
	v_add3_u32 v27, v36, v27, v19
	v_pack_b32_f16 v32, v50, v32
	v_pack_b32_f16 v12, v12, v13
	;; [unrolled: 1-line block ×4, first 2 shown]
	ds_write2_b32 v27, v32, v12 offset1:26
	v_pack_b32_f16 v12, v44, v45
	v_pack_b32_f16 v13, v46, v47
	ds_write2_b32 v27, v11, v9 offset0:104 offset1:130
	v_pack_b32_f16 v9, v34, v35
	ds_write2_b32 v27, v12, v13 offset0:52 offset1:78
	ds_write_b32 v27, v9 offset:624
	s_and_saveexec_b64 s[2:3], s[0:1]
	s_cbranch_execz .LBB0_17
; %bb.16:
	v_lshrrev_b16_e32 v25, 11, v25
	v_mul_lo_u16_e32 v9, 26, v25
	v_sub_u16_e32 v27, v16, v9
	v_mul_u32_u24_sdwa v9, v27, v33 dst_sel:DWORD dst_unused:UNUSED_PAD src0_sel:BYTE_0 src1_sel:DWORD
	v_lshlrev_b32_e32 v32, 2, v9
	global_load_dwordx4 v[9:12], v32, s[8:9] offset:52
	global_load_dwordx2 v[13:14], v32, s[8:9] offset:68
	s_waitcnt vmcnt(1)
	v_mul_f16_sdwa v32, v29, v9 dst_sel:DWORD dst_unused:UNUSED_PAD src0_sel:DWORD src1_sel:WORD_1
	s_waitcnt vmcnt(0)
	v_mul_f16_sdwa v33, v30, v14 dst_sel:DWORD dst_unused:UNUSED_PAD src0_sel:DWORD src1_sel:WORD_1
	v_mul_f16_sdwa v34, v21, v12 dst_sel:DWORD dst_unused:UNUSED_PAD src0_sel:DWORD src1_sel:WORD_1
	;; [unrolled: 1-line block ×11, first 2 shown]
	v_fma_f16 v8, v8, v9, v32
	v_fma_f16 v31, v31, v14, v33
	;; [unrolled: 1-line block ×6, first 2 shown]
	v_fma_f16 v14, v30, v14, -v38
	v_fma_f16 v9, v29, v9, -v39
	;; [unrolled: 1-line block ×6, first 2 shown]
	v_sub_f16_e32 v20, v8, v31
	v_sub_f16_e32 v21, v2, v5
	;; [unrolled: 1-line block ×3, first 2 shown]
	v_add_f16_e32 v28, v9, v14
	v_add_f16_e32 v30, v10, v13
	;; [unrolled: 1-line block ×6, first 2 shown]
	v_sub_f16_e32 v4, v9, v14
	v_sub_f16_e32 v5, v12, v11
	;; [unrolled: 1-line block ×5, first 2 shown]
	v_add_f16_e32 v12, v21, v22
	v_add_f16_e32 v21, v30, v28
	v_sub_f16_e32 v13, v28, v29
	v_sub_f16_e32 v14, v29, v30
	;; [unrolled: 1-line block ×4, first 2 shown]
	v_add_f16_e32 v33, v3, v8
	v_sub_f16_e32 v34, v4, v5
	v_sub_f16_e32 v35, v5, v9
	v_add_f16_e32 v5, v5, v9
	v_sub_f16_e32 v22, v22, v20
	v_sub_f16_e32 v3, v3, v8
	;; [unrolled: 1-line block ×3, first 2 shown]
	v_mul_f16_e32 v9, 0x3846, v11
	v_add_f16_e32 v11, v12, v20
	v_add_f16_e32 v20, v29, v21
	v_sub_f16_e32 v28, v30, v28
	v_mul_f16_e32 v12, 0x3a52, v13
	v_mul_f16_e32 v13, 0x2b26, v14
	v_add_f16_e32 v2, v2, v33
	v_add_f16_e32 v26, v26, v20
	v_mul_f16_e32 v21, 0x3a52, v31
	v_mul_f16_e32 v29, 0x2b26, v32
	;; [unrolled: 1-line block ×3, first 2 shown]
	v_add_f16_e32 v4, v5, v4
	v_mul_f16_e32 v5, 0xbb00, v22
	v_mul_f16_e32 v31, 0xbb00, v8
	v_fma_f16 v33, v10, s16, v9
	v_add_f16_e32 v7, v7, v2
	v_fma_f16 v20, v20, s6, v26
	v_fma_f16 v13, v28, s5, -v13
	v_fma_f16 v9, v22, s4, -v9
	v_fma_f16 v14, v14, s7, v12
	v_fma_f16 v32, v32, s7, v21
	;; [unrolled: 1-line block ×3, first 2 shown]
	v_fma_f16 v5, v10, s17, -v5
	v_fma_f16 v10, v28, s10, -v12
	;; [unrolled: 1-line block ×4, first 2 shown]
	v_fma_f16 v2, v2, s6, v7
	v_add_f16_e32 v13, v13, v20
	v_fma_f16 v9, v11, s11, v9
	v_fma_f16 v8, v8, s4, -v30
	v_fma_f16 v3, v3, s5, -v29
	v_fma_f16 v31, v11, s11, v33
	v_fma_f16 v33, v4, s11, v35
	;; [unrolled: 1-line block ×4, first 2 shown]
	v_add_f16_e32 v32, v32, v2
	v_add_f16_e32 v10, v10, v20
	;; [unrolled: 1-line block ×3, first 2 shown]
	v_sub_f16_e32 v11, v13, v9
	v_fma_f16 v4, v4, s11, v8
	v_add_f16_e32 v2, v3, v2
	v_add_f16_e32 v8, v9, v13
	v_mov_b32_e32 v13, 2
	v_add_f16_e32 v36, v5, v10
	v_sub_f16_e32 v37, v12, v21
	v_add_f16_e32 v3, v4, v2
	v_sub_f16_e32 v2, v2, v4
	v_sub_f16_e32 v4, v10, v5
	v_add_f16_e32 v5, v21, v12
	v_mad_u32_u24 v12, v25, s18, 0
	v_lshlrev_b32_sdwa v13, v13, v27 dst_sel:DWORD dst_unused:UNUSED_PAD src0_sel:DWORD src1_sel:BYTE_0
	v_add_f16_e32 v14, v14, v20
	v_add3_u32 v12, v12, v13, v19
	v_pack_b32_f16 v4, v5, v4
	v_pack_b32_f16 v2, v2, v8
	v_add_f16_e32 v34, v31, v14
	v_sub_f16_e32 v35, v32, v33
	v_sub_f16_e32 v9, v14, v31
	v_add_f16_e32 v10, v33, v32
	ds_write2_b32 v12, v4, v2 offset0:52 offset1:78
	v_pack_b32_f16 v2, v3, v11
	v_pack_b32_f16 v3, v37, v36
	;; [unrolled: 1-line block ×4, first 2 shown]
	ds_write2_b32 v12, v2, v3 offset0:104 offset1:130
	v_pack_b32_f16 v2, v35, v34
	ds_write2_b32 v12, v7, v9 offset1:26
	ds_write_b32 v12, v2 offset:624
.LBB0_17:
	s_or_b64 exec, exec, s[2:3]
	s_waitcnt lgkmcnt(0)
	s_barrier
	s_and_saveexec_b64 s[0:1], vcc
	s_cbranch_execz .LBB0_19
; %bb.18:
	v_lshlrev_b32_e32 v7, 2, v16
	v_mov_b32_e32 v8, 0
	v_lshlrev_b64 v[2:3], 2, v[7:8]
	v_mov_b32_e32 v9, s9
	v_add_co_u32_e32 v2, vcc, s8, v2
	v_addc_co_u32_e32 v3, vcc, v9, v3, vcc
	global_load_dwordx4 v[2:5], v[2:3], off offset:676
	v_add_u32_e32 v7, 0x400, v24
	v_add_u32_e32 v21, 0x800, v24
	;; [unrolled: 1-line block ×3, first 2 shown]
	ds_read2_b32 v[10:11], v24 offset0:91 offset1:182
	ds_read_b32 v24, v24 offset:3276
	ds_read_b32 v23, v23
	ds_read2_b32 v[12:13], v7 offset0:17 offset1:108
	ds_read2_b32 v[19:20], v14 offset0:71 offset1:162
	;; [unrolled: 1-line block ×3, first 2 shown]
	v_mov_b32_e32 v7, v8
	v_lshlrev_b64 v[6:7], 2, v[6:7]
	s_waitcnt lgkmcnt(2)
	v_lshrrev_b32_e32 v26, 16, v12
	v_add_co_u32_e32 v6, vcc, s8, v6
	v_addc_co_u32_e32 v7, vcc, v9, v7, vcc
	global_load_dwordx4 v[6:9], v[6:7], off offset:676
	v_lshrrev_b32_e32 v14, 16, v24
	s_waitcnt lgkmcnt(1)
	v_lshrrev_b32_e32 v27, 16, v19
	s_waitcnt lgkmcnt(0)
	v_lshrrev_b32_e32 v28, 16, v21
	v_lshrrev_b32_e32 v25, 16, v10
	s_mov_b32 s0, 0xbb9c
	s_movk_i32 s3, 0x3b9c
	s_mov_b32 s1, 0xb8b4
	s_movk_i32 s4, 0x38b4
	s_movk_i32 s2, 0x34f2
	s_waitcnt vmcnt(1)
	v_lshrrev_b32_e32 v29, 16, v3
	v_lshrrev_b32_e32 v30, 16, v4
	;; [unrolled: 1-line block ×3, first 2 shown]
	v_mul_f16_sdwa v32, v2, v12 dst_sel:DWORD dst_unused:UNUSED_PAD src0_sel:WORD_1 src1_sel:DWORD
	v_mul_f16_sdwa v33, v2, v26 dst_sel:DWORD dst_unused:UNUSED_PAD src0_sel:WORD_1 src1_sel:DWORD
	v_mul_f16_e32 v34, v5, v24
	v_mul_f16_e32 v35, v3, v19
	;; [unrolled: 1-line block ×6, first 2 shown]
	v_fma_f16 v26, v2, v26, -v32
	v_fma_f16 v2, v2, v12, v33
	v_fma_f16 v12, v14, v31, v34
	;; [unrolled: 1-line block ×4, first 2 shown]
	v_fma_f16 v3, v3, v27, -v19
	v_fma_f16 v5, v5, v14, -v24
	;; [unrolled: 1-line block ×3, first 2 shown]
	v_sub_f16_e32 v28, v29, v2
	v_sub_f16_e32 v31, v30, v12
	v_add_f16_e32 v32, v2, v12
	v_sub_f16_e32 v33, v26, v3
	v_sub_f16_e32 v34, v5, v4
	v_add_f16_e32 v35, v3, v4
	;; [unrolled: 3-line block ×3, first 2 shown]
	v_sub_f16_e32 v19, v29, v30
	v_add_f16_e32 v28, v28, v31
	v_fma_f16 v31, v32, -0.5, v10
	v_add_f16_e32 v32, v33, v34
	v_fma_f16 v33, v35, -0.5, v25
	;; [unrolled: 2-line block ×3, first 2 shown]
	v_sub_f16_e32 v14, v2, v12
	v_sub_f16_e32 v21, v2, v29
	;; [unrolled: 1-line block ×3, first 2 shown]
	v_add_f16_e32 v27, v29, v30
	v_fma_f16 v40, v19, s3, v37
	v_fma_f16 v37, v19, s0, v37
	v_add_f16_e32 v21, v21, v24
	v_fma_f16 v24, v27, -0.5, v10
	v_sub_f16_e32 v27, v26, v5
	v_fma_f16 v39, v14, s0, v33
	v_fma_f16 v40, v14, s1, v40
	;; [unrolled: 1-line block ×4, first 2 shown]
	v_sub_f16_e32 v36, v3, v4
	v_fma_f16 v34, v27, s3, v24
	v_fma_f16 v39, v19, s1, v39
	;; [unrolled: 1-line block ×8, first 2 shown]
	v_add_f16_e32 v21, v26, v25
	v_add_f16_e32 v2, v2, v10
	;; [unrolled: 1-line block ×4, first 2 shown]
	v_fma_f16 v38, v36, s0, v31
	v_fma_f16 v31, v36, s3, v31
	v_add_f16_e32 v3, v4, v3
	v_add_f16_e32 v2, v30, v2
	v_fma_f16 v38, v27, s4, v38
	v_fma_f16 v31, v27, s1, v31
	v_add_f16_e32 v21, v5, v3
	v_add_f16_e32 v10, v12, v2
	v_lshrrev_b32_e32 v2, 16, v11
	s_waitcnt vmcnt(0)
	v_mul_f16_sdwa v3, v6, v11 dst_sel:DWORD dst_unused:UNUSED_PAD src0_sel:WORD_1 src1_sel:DWORD
	v_lshrrev_b32_e32 v4, 16, v13
	v_mul_f16_sdwa v5, v7, v13 dst_sel:DWORD dst_unused:UNUSED_PAD src0_sel:WORD_1 src1_sel:DWORD
	v_lshrrev_b32_e32 v24, 16, v22
	;; [unrolled: 2-line block ×3, first 2 shown]
	v_mul_f16_sdwa v27, v8, v20 dst_sel:DWORD dst_unused:UNUSED_PAD src0_sel:WORD_1 src1_sel:DWORD
	v_fma_f16 v3, v6, v2, -v3
	v_fma_f16 v5, v7, v4, -v5
	v_fma_f16 v25, v9, v24, -v25
	v_fma_f16 v27, v8, v26, -v27
	v_mul_f16_sdwa v4, v7, v4 dst_sel:DWORD dst_unused:UNUSED_PAD src0_sel:WORD_1 src1_sel:DWORD
	v_fma_f16 v38, v28, s2, v38
	v_fma_f16 v39, v32, s2, v39
	;; [unrolled: 1-line block ×4, first 2 shown]
	v_sub_f16_e32 v12, v3, v5
	v_sub_f16_e32 v29, v25, v27
	v_mul_f16_sdwa v2, v6, v2 dst_sel:DWORD dst_unused:UNUSED_PAD src0_sel:WORD_1 src1_sel:DWORD
	v_fma_f16 v7, v7, v13, v4
	v_mul_f16_sdwa v4, v8, v26 dst_sel:DWORD dst_unused:UNUSED_PAD src0_sel:WORD_1 src1_sel:DWORD
	v_sub_f16_e32 v31, v5, v3
	v_sub_f16_e32 v32, v27, v25
	v_add_f16_e32 v12, v12, v29
	v_lshrrev_b32_e32 v29, 16, v23
	v_fma_f16 v6, v6, v11, v2
	v_mul_f16_sdwa v2, v9, v24 dst_sel:DWORD dst_unused:UNUSED_PAD src0_sel:WORD_1 src1_sel:DWORD
	v_fma_f16 v8, v8, v20, v4
	v_add_f16_e32 v31, v31, v32
	v_add_f16_e32 v32, v3, v25
	;; [unrolled: 1-line block ×3, first 2 shown]
	v_fma_f16 v9, v9, v22, v2
	v_sub_f16_e32 v4, v7, v8
	v_fma_f16 v32, v32, -0.5, v29
	v_fma_f16 v30, v30, -0.5, v29
	v_sub_f16_e32 v2, v6, v9
	v_sub_f16_e32 v13, v6, v7
	;; [unrolled: 1-line block ×3, first 2 shown]
	v_fma_f16 v33, v4, s3, v32
	v_fma_f16 v32, v4, s0, v32
	;; [unrolled: 1-line block ×3, first 2 shown]
	v_add_f16_e32 v13, v13, v20
	v_add_f16_e32 v20, v7, v8
	v_fma_f16 v33, v2, s1, v33
	v_fma_f16 v32, v2, s4, v32
	;; [unrolled: 1-line block ×6, first 2 shown]
	v_fma_f16 v20, v20, -0.5, v23
	v_sub_f16_e32 v22, v3, v25
	v_sub_f16_e32 v36, v7, v6
	;; [unrolled: 1-line block ×3, first 2 shown]
	v_fma_f16 v2, v4, s4, v2
	v_fma_f16 v11, v12, s2, v11
	;; [unrolled: 1-line block ×3, first 2 shown]
	v_sub_f16_e32 v26, v5, v27
	v_add_f16_e32 v36, v36, v37
	v_add_f16_e32 v37, v6, v9
	v_fma_f16 v12, v12, s2, v2
	v_fma_f16 v2, v22, s0, v20
	;; [unrolled: 1-line block ×3, first 2 shown]
	v_fma_f16 v37, v37, -0.5, v23
	v_fma_f16 v2, v26, s1, v2
	v_fma_f16 v24, v13, s2, v24
	;; [unrolled: 1-line block ×6, first 2 shown]
	v_add_f16_e32 v2, v3, v29
	v_fma_f16 v41, v26, s0, v37
	v_fma_f16 v32, v22, s1, v32
	v_add_f16_e32 v4, v5, v2
	v_mad_u64_u32 v[2:3], s[0:1], s12, v15, 0
	v_add_f16_e32 v4, v4, v27
	v_add_f16_e32 v20, v25, v4
	;; [unrolled: 1-line block ×3, first 2 shown]
	v_mad_u64_u32 v[3:4], s[0:1], s13, v15, v[3:4]
	v_add_f16_e32 v4, v7, v5
	v_add_f16_e32 v4, v4, v8
	;; [unrolled: 1-line block ×3, first 2 shown]
	v_mad_u64_u32 v[4:5], s[0:1], s12, v18, 0
	v_mov_b32_e32 v7, s15
	v_add_co_u32_e32 v8, vcc, s14, v0
	v_addc_co_u32_e32 v7, vcc, v7, v1, vcc
	v_lshlrev_b64 v[0:1], 2, v[2:3]
	v_mov_b32_e32 v2, v5
	v_mad_u64_u32 v[2:3], s[0:1], s13, v18, v[2:3]
	v_add_co_u32_e32 v0, vcc, v8, v0
	v_addc_co_u32_e32 v1, vcc, v7, v1, vcc
	v_pack_b32_f16 v3, v6, v20
	global_store_dword v[0:1], v3, off
	v_mov_b32_e32 v5, v2
	v_mad_u64_u32 v[2:3], s[0:1], s12, v17, 0
	v_lshlrev_b64 v[0:1], 2, v[4:5]
	v_add_u32_e32 v9, 0x222, v15
	v_mad_u64_u32 v[3:4], s[0:1], s13, v17, v[3:4]
	v_mad_u64_u32 v[4:5], s[0:1], s12, v9, 0
	v_add_co_u32_e32 v0, vcc, v8, v0
	v_addc_co_u32_e32 v1, vcc, v7, v1, vcc
	v_pack_b32_f16 v6, v13, v12
	global_store_dword v[0:1], v6, off
	v_lshlrev_b64 v[0:1], 2, v[2:3]
	v_mov_b32_e32 v2, v5
	v_mad_u64_u32 v[2:3], s[0:1], s13, v9, v[2:3]
	v_fma_f16 v32, v36, s2, v32
	v_add_co_u32_e32 v0, vcc, v8, v0
	v_addc_co_u32_e32 v1, vcc, v7, v1, vcc
	v_pack_b32_f16 v3, v32, v31
	v_mov_b32_e32 v5, v2
	global_store_dword v[0:1], v3, off
	v_lshlrev_b64 v[0:1], 2, v[4:5]
	v_add_u32_e32 v4, 0x2d8, v15
	v_mad_u64_u32 v[2:3], s[0:1], s12, v4, 0
	v_lshrrev_b32_e32 v5, 1, v16
	s_mov_b32 s0, 0xb40b40b5
	v_mul_hi_u32 v5, v5, s0
	v_fma_f16 v41, v22, s4, v41
	v_mad_u64_u32 v[3:4], s[0:1], s13, v4, v[3:4]
	v_fma_f16 v41, v36, s2, v41
	s_movk_i32 s2, 0x2d8
	v_lshrrev_b32_e32 v4, 6, v5
	v_mad_u32_u24 v9, v4, s2, v16
	v_mad_u64_u32 v[4:5], s[0:1], s12, v9, 0
	v_add_co_u32_e32 v0, vcc, v8, v0
	v_addc_co_u32_e32 v1, vcc, v7, v1, vcc
	v_pack_b32_f16 v6, v41, v33
	global_store_dword v[0:1], v6, off
	v_lshlrev_b64 v[0:1], 2, v[2:3]
	v_mov_b32_e32 v2, v5
	v_mad_u64_u32 v[2:3], s[0:1], s13, v9, v[2:3]
	v_add_co_u32_e32 v0, vcc, v8, v0
	v_addc_co_u32_e32 v1, vcc, v7, v1, vcc
	v_pack_b32_f16 v3, v24, v11
	v_mov_b32_e32 v5, v2
	global_store_dword v[0:1], v3, off
	v_lshlrev_b64 v[0:1], 2, v[4:5]
	v_add_u32_e32 v4, 0xb6, v9
	v_mad_u64_u32 v[2:3], s[0:1], s12, v4, 0
	v_pack_b32_f16 v6, v10, v21
	v_add_u32_e32 v10, 0x16c, v9
	v_mad_u64_u32 v[3:4], s[0:1], s13, v4, v[3:4]
	v_mad_u64_u32 v[4:5], s[0:1], s12, v10, 0
	v_add_co_u32_e32 v0, vcc, v8, v0
	v_addc_co_u32_e32 v1, vcc, v7, v1, vcc
	global_store_dword v[0:1], v6, off
	v_lshlrev_b64 v[0:1], 2, v[2:3]
	v_mov_b32_e32 v2, v5
	v_mad_u64_u32 v[2:3], s[0:1], s13, v10, v[2:3]
	v_add_co_u32_e32 v0, vcc, v8, v0
	v_addc_co_u32_e32 v1, vcc, v7, v1, vcc
	v_pack_b32_f16 v3, v19, v14
	v_mov_b32_e32 v5, v2
	global_store_dword v[0:1], v3, off
	v_lshlrev_b64 v[0:1], 2, v[4:5]
	v_add_u32_e32 v4, 0x222, v9
	v_mad_u64_u32 v[2:3], s[0:1], s12, v4, 0
	v_add_u32_e32 v9, 0x2d8, v9
	v_add_co_u32_e32 v0, vcc, v8, v0
	v_mad_u64_u32 v[3:4], s[0:1], s13, v4, v[3:4]
	v_mad_u64_u32 v[4:5], s[0:1], s12, v9, 0
	v_addc_co_u32_e32 v1, vcc, v7, v1, vcc
	v_pack_b32_f16 v6, v28, v35
	global_store_dword v[0:1], v6, off
	v_lshlrev_b64 v[0:1], 2, v[2:3]
	v_mov_b32_e32 v2, v5
	v_mad_u64_u32 v[2:3], s[0:1], s13, v9, v[2:3]
	v_add_co_u32_e32 v0, vcc, v8, v0
	v_addc_co_u32_e32 v1, vcc, v7, v1, vcc
	v_pack_b32_f16 v3, v38, v40
	v_mov_b32_e32 v5, v2
	global_store_dword v[0:1], v3, off
	v_lshlrev_b64 v[0:1], 2, v[4:5]
	v_pack_b32_f16 v2, v34, v39
	v_add_co_u32_e32 v0, vcc, v8, v0
	v_addc_co_u32_e32 v1, vcc, v7, v1, vcc
	global_store_dword v[0:1], v2, off
.LBB0_19:
	s_endpgm
	.section	.rodata,"a",@progbits
	.p2align	6, 0x0
	.amdhsa_kernel fft_rtc_back_len910_factors_13_2_7_5_wgs_182_tpt_91_half_ip_CI_sbrr_dirReg
		.amdhsa_group_segment_fixed_size 0
		.amdhsa_private_segment_fixed_size 0
		.amdhsa_kernarg_size 88
		.amdhsa_user_sgpr_count 6
		.amdhsa_user_sgpr_private_segment_buffer 1
		.amdhsa_user_sgpr_dispatch_ptr 0
		.amdhsa_user_sgpr_queue_ptr 0
		.amdhsa_user_sgpr_kernarg_segment_ptr 1
		.amdhsa_user_sgpr_dispatch_id 0
		.amdhsa_user_sgpr_flat_scratch_init 0
		.amdhsa_user_sgpr_private_segment_size 0
		.amdhsa_uses_dynamic_stack 0
		.amdhsa_system_sgpr_private_segment_wavefront_offset 0
		.amdhsa_system_sgpr_workgroup_id_x 1
		.amdhsa_system_sgpr_workgroup_id_y 0
		.amdhsa_system_sgpr_workgroup_id_z 0
		.amdhsa_system_sgpr_workgroup_info 0
		.amdhsa_system_vgpr_workitem_id 0
		.amdhsa_next_free_vgpr 125
		.amdhsa_next_free_sgpr 26
		.amdhsa_reserve_vcc 1
		.amdhsa_reserve_flat_scratch 0
		.amdhsa_float_round_mode_32 0
		.amdhsa_float_round_mode_16_64 0
		.amdhsa_float_denorm_mode_32 3
		.amdhsa_float_denorm_mode_16_64 3
		.amdhsa_dx10_clamp 1
		.amdhsa_ieee_mode 1
		.amdhsa_fp16_overflow 0
		.amdhsa_exception_fp_ieee_invalid_op 0
		.amdhsa_exception_fp_denorm_src 0
		.amdhsa_exception_fp_ieee_div_zero 0
		.amdhsa_exception_fp_ieee_overflow 0
		.amdhsa_exception_fp_ieee_underflow 0
		.amdhsa_exception_fp_ieee_inexact 0
		.amdhsa_exception_int_div_zero 0
	.end_amdhsa_kernel
	.text
.Lfunc_end0:
	.size	fft_rtc_back_len910_factors_13_2_7_5_wgs_182_tpt_91_half_ip_CI_sbrr_dirReg, .Lfunc_end0-fft_rtc_back_len910_factors_13_2_7_5_wgs_182_tpt_91_half_ip_CI_sbrr_dirReg
                                        ; -- End function
	.section	.AMDGPU.csdata,"",@progbits
; Kernel info:
; codeLenInByte = 9216
; NumSgprs: 30
; NumVgprs: 125
; ScratchSize: 0
; MemoryBound: 0
; FloatMode: 240
; IeeeMode: 1
; LDSByteSize: 0 bytes/workgroup (compile time only)
; SGPRBlocks: 3
; VGPRBlocks: 31
; NumSGPRsForWavesPerEU: 30
; NumVGPRsForWavesPerEU: 125
; Occupancy: 2
; WaveLimiterHint : 1
; COMPUTE_PGM_RSRC2:SCRATCH_EN: 0
; COMPUTE_PGM_RSRC2:USER_SGPR: 6
; COMPUTE_PGM_RSRC2:TRAP_HANDLER: 0
; COMPUTE_PGM_RSRC2:TGID_X_EN: 1
; COMPUTE_PGM_RSRC2:TGID_Y_EN: 0
; COMPUTE_PGM_RSRC2:TGID_Z_EN: 0
; COMPUTE_PGM_RSRC2:TIDIG_COMP_CNT: 0
	.type	__hip_cuid_1207ded8ab259297,@object ; @__hip_cuid_1207ded8ab259297
	.section	.bss,"aw",@nobits
	.globl	__hip_cuid_1207ded8ab259297
__hip_cuid_1207ded8ab259297:
	.byte	0                               ; 0x0
	.size	__hip_cuid_1207ded8ab259297, 1

	.ident	"AMD clang version 19.0.0git (https://github.com/RadeonOpenCompute/llvm-project roc-6.4.0 25133 c7fe45cf4b819c5991fe208aaa96edf142730f1d)"
	.section	".note.GNU-stack","",@progbits
	.addrsig
	.addrsig_sym __hip_cuid_1207ded8ab259297
	.amdgpu_metadata
---
amdhsa.kernels:
  - .args:
      - .actual_access:  read_only
        .address_space:  global
        .offset:         0
        .size:           8
        .value_kind:     global_buffer
      - .offset:         8
        .size:           8
        .value_kind:     by_value
      - .actual_access:  read_only
        .address_space:  global
        .offset:         16
        .size:           8
        .value_kind:     global_buffer
      - .actual_access:  read_only
        .address_space:  global
        .offset:         24
        .size:           8
        .value_kind:     global_buffer
      - .offset:         32
        .size:           8
        .value_kind:     by_value
      - .actual_access:  read_only
        .address_space:  global
        .offset:         40
        .size:           8
        .value_kind:     global_buffer
      - .actual_access:  read_only
        .address_space:  global
        .offset:         48
        .size:           8
        .value_kind:     global_buffer
      - .offset:         56
        .size:           4
        .value_kind:     by_value
      - .actual_access:  read_only
        .address_space:  global
        .offset:         64
        .size:           8
        .value_kind:     global_buffer
      - .actual_access:  read_only
        .address_space:  global
        .offset:         72
        .size:           8
        .value_kind:     global_buffer
      - .address_space:  global
        .offset:         80
        .size:           8
        .value_kind:     global_buffer
    .group_segment_fixed_size: 0
    .kernarg_segment_align: 8
    .kernarg_segment_size: 88
    .language:       OpenCL C
    .language_version:
      - 2
      - 0
    .max_flat_workgroup_size: 182
    .name:           fft_rtc_back_len910_factors_13_2_7_5_wgs_182_tpt_91_half_ip_CI_sbrr_dirReg
    .private_segment_fixed_size: 0
    .sgpr_count:     30
    .sgpr_spill_count: 0
    .symbol:         fft_rtc_back_len910_factors_13_2_7_5_wgs_182_tpt_91_half_ip_CI_sbrr_dirReg.kd
    .uniform_work_group_size: 1
    .uses_dynamic_stack: false
    .vgpr_count:     125
    .vgpr_spill_count: 0
    .wavefront_size: 64
amdhsa.target:   amdgcn-amd-amdhsa--gfx906
amdhsa.version:
  - 1
  - 2
...

	.end_amdgpu_metadata
